;; amdgpu-corpus repo=ROCm/rocFFT kind=compiled arch=gfx1030 opt=O3
	.text
	.amdgcn_target "amdgcn-amd-amdhsa--gfx1030"
	.amdhsa_code_object_version 6
	.protected	fft_rtc_fwd_len64_factors_8_8_wgs_256_tpt_8_dp_ip_CI_sbcc_dirReg ; -- Begin function fft_rtc_fwd_len64_factors_8_8_wgs_256_tpt_8_dp_ip_CI_sbcc_dirReg
	.globl	fft_rtc_fwd_len64_factors_8_8_wgs_256_tpt_8_dp_ip_CI_sbcc_dirReg
	.p2align	8
	.type	fft_rtc_fwd_len64_factors_8_8_wgs_256_tpt_8_dp_ip_CI_sbcc_dirReg,@function
fft_rtc_fwd_len64_factors_8_8_wgs_256_tpt_8_dp_ip_CI_sbcc_dirReg: ; @fft_rtc_fwd_len64_factors_8_8_wgs_256_tpt_8_dp_ip_CI_sbcc_dirReg
; %bb.0:
	s_load_dwordx4 s[8:11], s[4:5], 0x18
	s_mov_b32 s7, 0
	s_mov_b64 s[22:23], 0
	s_waitcnt lgkmcnt(0)
	s_load_dwordx2 s[14:15], s[8:9], 0x8
	s_waitcnt lgkmcnt(0)
	s_add_u32 s0, s14, -1
	s_addc_u32 s1, s15, -1
	s_lshr_b64 s[0:1], s[0:1], 5
	s_add_u32 s16, s0, 1
	s_addc_u32 s17, s1, 0
	v_cmp_lt_u64_e64 s0, s[6:7], s[16:17]
	s_and_b32 vcc_lo, exec_lo, s0
	s_cbranch_vccnz .LBB0_2
; %bb.1:
	v_cvt_f32_u32_e32 v1, s16
	s_sub_i32 s1, 0, s16
	s_mov_b32 s23, s7
	v_rcp_iflag_f32_e32 v1, v1
	v_mul_f32_e32 v1, 0x4f7ffffe, v1
	v_cvt_u32_f32_e32 v1, v1
	v_readfirstlane_b32 s0, v1
	s_mul_i32 s1, s1, s0
	s_mul_hi_u32 s1, s0, s1
	s_add_i32 s0, s0, s1
	s_mul_hi_u32 s0, s6, s0
	s_mul_i32 s1, s0, s16
	s_add_i32 s2, s0, 1
	s_sub_i32 s1, s6, s1
	s_sub_i32 s3, s1, s16
	s_cmp_ge_u32 s1, s16
	s_cselect_b32 s0, s2, s0
	s_cselect_b32 s1, s3, s1
	s_add_i32 s2, s0, 1
	s_cmp_ge_u32 s1, s16
	s_cselect_b32 s22, s2, s0
.LBB0_2:
	s_load_dwordx4 s[0:3], s[10:11], 0x0
	s_load_dwordx2 s[20:21], s[4:5], 0x10
	s_mul_i32 s12, s22, s17
	s_mul_hi_u32 s13, s22, s16
	s_mul_i32 s18, s22, s16
	s_add_i32 s13, s13, s12
	s_sub_u32 s18, s6, s18
	s_subb_u32 s19, 0, s13
	s_clause 0x1
	s_load_dwordx2 s[12:13], s[4:5], 0x58
	s_load_dwordx2 s[4:5], s[4:5], 0x0
	v_alignbit_b32 v1, s19, s18, 27
	s_lshl_b64 s[18:19], s[18:19], 5
	s_waitcnt lgkmcnt(0)
	v_mul_lo_u32 v1, s2, v1
	s_mul_hi_u32 s24, s2, s18
	v_cmp_lt_u64_e64 s25, s[20:21], 3
	s_mul_i32 s26, s3, s18
	s_and_b32 vcc_lo, exec_lo, s25
	v_add_nc_u32_e32 v2, s24, v1
	s_mul_i32 s24, s2, s18
	v_mov_b32_e32 v1, s24
	v_add_nc_u32_e32 v2, s26, v2
	s_cbranch_vccnz .LBB0_11
; %bb.3:
	s_add_u32 s24, s10, 16
	s_addc_u32 s25, s11, 0
	s_add_u32 s8, s8, 16
	s_addc_u32 s9, s9, 0
	s_mov_b64 s[26:27], 2
	s_mov_b32 s28, 0
	s_branch .LBB0_5
.LBB0_4:                                ;   in Loop: Header=BB0_5 Depth=1
	s_load_dwordx2 s[36:37], s[24:25], 0x0
	s_mul_i32 s17, s30, s17
	s_mul_hi_u32 s29, s30, s16
	s_mul_i32 s33, s31, s16
	s_mul_i32 s31, s34, s31
	s_mul_hi_u32 s38, s34, s30
	s_mul_i32 s39, s35, s30
	s_add_i32 s17, s29, s17
	s_add_i32 s29, s38, s31
	s_mul_i32 s40, s34, s30
	s_add_i32 s17, s17, s33
	s_add_i32 s29, s29, s39
	s_sub_u32 s22, s22, s40
	s_subb_u32 s23, s23, s29
	s_mul_i32 s16, s30, s16
	s_waitcnt lgkmcnt(0)
	s_mul_i32 s23, s36, s23
	s_mul_hi_u32 s29, s36, s22
	s_mul_i32 s31, s37, s22
	s_add_i32 s23, s29, s23
	s_mul_i32 s22, s36, s22
	s_add_i32 s23, s23, s31
	s_add_u32 s26, s26, 1
	s_addc_u32 s27, s27, 0
	v_add_co_u32 v1, vcc_lo, s22, v1
	v_cmp_ge_u64_e64 s29, s[26:27], s[20:21]
	v_add_co_ci_u32_e32 v2, vcc_lo, s23, v2, vcc_lo
	s_add_u32 s24, s24, 8
	s_addc_u32 s25, s25, 0
	s_add_u32 s8, s8, 8
	s_addc_u32 s9, s9, 0
	s_and_b32 vcc_lo, exec_lo, s29
	s_mov_b64 s[22:23], s[34:35]
	s_cbranch_vccnz .LBB0_9
.LBB0_5:                                ; =>This Inner Loop Header: Depth=1
	s_load_dwordx2 s[30:31], s[8:9], 0x0
	s_waitcnt lgkmcnt(0)
	s_or_b64 s[34:35], s[22:23], s[30:31]
	s_mov_b32 s29, s35
                                        ; implicit-def: $sgpr34_sgpr35
	s_cmp_lg_u64 s[28:29], 0
	s_mov_b32 s29, -1
	s_cbranch_scc0 .LBB0_7
; %bb.6:                                ;   in Loop: Header=BB0_5 Depth=1
	v_cvt_f32_u32_e32 v3, s30
	v_cvt_f32_u32_e32 v4, s31
	s_sub_u32 s34, 0, s30
	s_subb_u32 s35, 0, s31
	v_fmac_f32_e32 v3, 0x4f800000, v4
	v_rcp_f32_e32 v3, v3
	v_mul_f32_e32 v3, 0x5f7ffffc, v3
	v_mul_f32_e32 v4, 0x2f800000, v3
	v_trunc_f32_e32 v4, v4
	v_fmac_f32_e32 v3, 0xcf800000, v4
	v_cvt_u32_f32_e32 v4, v4
	v_cvt_u32_f32_e32 v3, v3
	v_readfirstlane_b32 s29, v4
	v_readfirstlane_b32 s33, v3
	s_mul_i32 s36, s34, s29
	s_mul_hi_u32 s38, s34, s33
	s_mul_i32 s37, s35, s33
	s_add_i32 s36, s38, s36
	s_mul_i32 s39, s34, s33
	s_add_i32 s36, s36, s37
	s_mul_hi_u32 s38, s33, s39
	s_mul_hi_u32 s40, s29, s39
	s_mul_i32 s37, s29, s39
	s_mul_hi_u32 s39, s33, s36
	s_mul_i32 s33, s33, s36
	s_mul_hi_u32 s41, s29, s36
	s_add_u32 s33, s38, s33
	s_addc_u32 s38, 0, s39
	s_add_u32 s33, s33, s37
	s_mul_i32 s36, s29, s36
	s_addc_u32 s33, s38, s40
	s_addc_u32 s37, s41, 0
	s_add_u32 s33, s33, s36
	s_addc_u32 s36, 0, s37
	v_add_co_u32 v3, s33, v3, s33
	s_cmp_lg_u32 s33, 0
	s_addc_u32 s29, s29, s36
	v_readfirstlane_b32 s33, v3
	s_mul_i32 s36, s34, s29
	s_mul_hi_u32 s37, s34, s33
	s_mul_i32 s35, s35, s33
	s_add_i32 s36, s37, s36
	s_mul_i32 s34, s34, s33
	s_add_i32 s36, s36, s35
	s_mul_hi_u32 s37, s29, s34
	s_mul_i32 s38, s29, s34
	s_mul_hi_u32 s34, s33, s34
	s_mul_hi_u32 s39, s33, s36
	s_mul_i32 s33, s33, s36
	s_mul_hi_u32 s35, s29, s36
	s_add_u32 s33, s34, s33
	s_addc_u32 s34, 0, s39
	s_add_u32 s33, s33, s38
	s_mul_i32 s36, s29, s36
	s_addc_u32 s33, s34, s37
	s_addc_u32 s34, s35, 0
	s_add_u32 s33, s33, s36
	s_addc_u32 s34, 0, s34
	v_add_co_u32 v3, s33, v3, s33
	s_cmp_lg_u32 s33, 0
	s_addc_u32 s29, s29, s34
	v_readfirstlane_b32 s33, v3
	s_mul_i32 s35, s22, s29
	s_mul_hi_u32 s34, s22, s29
	s_mul_hi_u32 s36, s23, s29
	s_mul_i32 s29, s23, s29
	s_mul_hi_u32 s37, s22, s33
	s_mul_hi_u32 s38, s23, s33
	s_mul_i32 s33, s23, s33
	s_add_u32 s35, s37, s35
	s_addc_u32 s34, 0, s34
	s_add_u32 s33, s35, s33
	s_addc_u32 s33, s34, s38
	s_addc_u32 s34, s36, 0
	s_add_u32 s33, s33, s29
	s_addc_u32 s34, 0, s34
	s_mul_hi_u32 s29, s30, s33
	s_mul_i32 s36, s30, s34
	s_mul_i32 s37, s30, s33
	s_add_i32 s29, s29, s36
	v_sub_co_u32 v3, s36, s22, s37
	s_mul_i32 s35, s31, s33
	s_add_i32 s29, s29, s35
	v_sub_co_u32 v4, s37, v3, s30
	s_sub_i32 s35, s23, s29
	s_cmp_lg_u32 s36, 0
	s_subb_u32 s35, s35, s31
	s_cmp_lg_u32 s37, 0
	v_readfirstlane_b32 s37, v4
	s_subb_u32 s35, s35, 0
	s_cmp_ge_u32 s35, s31
	s_cselect_b32 s38, -1, 0
	s_cmp_ge_u32 s37, s30
	s_cselect_b32 s37, -1, 0
	s_cmp_eq_u32 s35, s31
	s_cselect_b32 s35, s37, s38
	s_add_u32 s37, s33, 1
	s_addc_u32 s38, s34, 0
	s_add_u32 s39, s33, 2
	s_addc_u32 s40, s34, 0
	s_cmp_lg_u32 s35, 0
	s_cselect_b32 s37, s39, s37
	s_cselect_b32 s35, s40, s38
	s_cmp_lg_u32 s36, 0
	v_readfirstlane_b32 s36, v3
	s_subb_u32 s29, s23, s29
	s_cmp_ge_u32 s29, s31
	s_cselect_b32 s38, -1, 0
	s_cmp_ge_u32 s36, s30
	s_cselect_b32 s36, -1, 0
	s_cmp_eq_u32 s29, s31
	s_cselect_b32 s29, s36, s38
	s_cmp_lg_u32 s29, 0
	s_mov_b32 s29, 0
	s_cselect_b32 s35, s35, s34
	s_cselect_b32 s34, s37, s33
.LBB0_7:                                ;   in Loop: Header=BB0_5 Depth=1
	s_andn2_b32 vcc_lo, exec_lo, s29
	s_cbranch_vccnz .LBB0_4
; %bb.8:                                ;   in Loop: Header=BB0_5 Depth=1
	v_cvt_f32_u32_e32 v3, s30
	s_sub_i32 s33, 0, s30
	v_rcp_iflag_f32_e32 v3, v3
	v_mul_f32_e32 v3, 0x4f7ffffe, v3
	v_cvt_u32_f32_e32 v3, v3
	v_readfirstlane_b32 s29, v3
	s_mul_i32 s33, s33, s29
	s_mul_hi_u32 s33, s29, s33
	s_add_i32 s29, s29, s33
	s_mul_hi_u32 s29, s22, s29
	s_mul_i32 s33, s29, s30
	s_add_i32 s34, s29, 1
	s_sub_i32 s33, s22, s33
	s_sub_i32 s35, s33, s30
	s_cmp_ge_u32 s33, s30
	s_cselect_b32 s29, s34, s29
	s_cselect_b32 s33, s35, s33
	s_add_i32 s34, s29, 1
	s_cmp_ge_u32 s33, s30
	s_mov_b32 s35, s28
	s_cselect_b32 s34, s34, s29
	s_branch .LBB0_4
.LBB0_9:
	v_cmp_lt_u64_e64 s7, s[6:7], s[16:17]
	s_mov_b64 s[22:23], 0
	s_and_b32 vcc_lo, exec_lo, s7
	s_cbranch_vccnz .LBB0_11
; %bb.10:
	v_cvt_f32_u32_e32 v3, s16
	s_sub_i32 s8, 0, s16
	v_rcp_iflag_f32_e32 v3, v3
	v_mul_f32_e32 v3, 0x4f7ffffe, v3
	v_cvt_u32_f32_e32 v3, v3
	v_readfirstlane_b32 s7, v3
	s_mul_i32 s8, s8, s7
	s_mul_hi_u32 s8, s7, s8
	s_add_i32 s7, s7, s8
	s_mul_hi_u32 s7, s6, s7
	s_mul_i32 s8, s7, s16
	s_sub_i32 s6, s6, s8
	s_add_i32 s8, s7, 1
	s_sub_i32 s9, s6, s16
	s_cmp_ge_u32 s6, s16
	s_cselect_b32 s7, s8, s7
	s_cselect_b32 s6, s9, s6
	s_add_i32 s8, s7, 1
	s_cmp_ge_u32 s6, s16
	s_cselect_b32 s22, s8, s7
.LBB0_11:
	s_lshl_b64 s[6:7], s[20:21], 3
	v_and_b32_e32 v35, 31, v0
	s_add_u32 s6, s10, s6
	s_addc_u32 s7, s11, s7
	v_mov_b32_e32 v4, s19
	s_load_dwordx2 s[6:7], s[6:7], 0x0
	v_or_b32_e32 v3, s18, v35
	v_lshrrev_b32_e32 v36, 5, v0
                                        ; implicit-def: $vgpr11_vgpr12
                                        ; implicit-def: $vgpr27_vgpr28
                                        ; implicit-def: $vgpr31_vgpr32
                                        ; implicit-def: $vgpr19_vgpr20
                                        ; implicit-def: $vgpr23_vgpr24
                                        ; implicit-def: $vgpr15_vgpr16
                                        ; implicit-def: $vgpr7_vgpr8
	s_waitcnt lgkmcnt(0)
	s_mul_i32 s7, s7, s22
	s_mul_hi_u32 s8, s6, s22
	s_mul_i32 s9, s6, s22
	s_add_i32 s8, s8, s7
	v_add_co_u32 v1, vcc_lo, s9, v1
	s_add_u32 s6, s18, 32
	v_add_co_ci_u32_e32 v2, vcc_lo, s8, v2, vcc_lo
	s_addc_u32 s7, s19, 0
	v_cmp_gt_u64_e32 vcc_lo, s[14:15], v[3:4]
	v_cmp_le_u64_e64 s6, s[6:7], s[14:15]
	v_lshlrev_b64 v[33:34], 4, v[1:2]
                                        ; implicit-def: $vgpr3_vgpr4
	s_or_b32 s10, s6, vcc_lo
	s_and_saveexec_b32 s6, s10
	s_cbranch_execz .LBB0_13
; %bb.12:
	v_mad_u64_u32 v[1:2], null, s2, v35, 0
	v_mad_u64_u32 v[3:4], null, s0, v36, 0
	v_add_nc_u32_e32 v11, 8, v36
	v_add_nc_u32_e32 v13, 16, v36
	v_add_co_u32 v12, vcc_lo, s12, v33
	v_add_co_ci_u32_e32 v14, vcc_lo, s13, v34, vcc_lo
	v_mad_u64_u32 v[5:6], null, s0, v11, 0
	v_mad_u64_u32 v[7:8], null, s3, v35, v[2:3]
	v_or_b32_e32 v18, 32, v36
	v_add_nc_u32_e32 v20, 40, v36
	v_add_nc_u32_e32 v23, 48, v36
	;; [unrolled: 1-line block ×3, first 2 shown]
	v_mad_u64_u32 v[8:9], null, s1, v36, v[4:5]
	v_mov_b32_e32 v2, v7
	v_mad_u64_u32 v[9:10], null, s0, v13, 0
	v_mad_u64_u32 v[6:7], null, s1, v11, v[6:7]
	v_lshlrev_b64 v[1:2], 4, v[1:2]
	v_mov_b32_e32 v4, v8
	v_add_nc_u32_e32 v8, 24, v36
	v_mov_b32_e32 v7, v10
	v_lshlrev_b64 v[3:4], 4, v[3:4]
	v_add_co_u32 v25, vcc_lo, v12, v1
	v_mad_u64_u32 v[11:12], null, s0, v8, 0
	v_add_co_ci_u32_e32 v26, vcc_lo, v14, v2, vcc_lo
	v_add_co_u32 v1, vcc_lo, v25, v3
	v_add_co_ci_u32_e32 v2, vcc_lo, v26, v4, vcc_lo
	v_lshlrev_b64 v[3:4], 4, v[5:6]
	v_mad_u64_u32 v[5:6], null, s1, v13, v[7:8]
	v_mov_b32_e32 v6, v12
	v_mad_u64_u32 v[13:14], null, s0, v18, 0
	v_add_co_u32 v3, vcc_lo, v25, v3
	v_mad_u64_u32 v[15:16], null, s1, v8, v[6:7]
	v_mad_u64_u32 v[16:17], null, s0, v20, 0
	v_mov_b32_e32 v10, v5
	v_add_co_ci_u32_e32 v4, vcc_lo, v26, v4, vcc_lo
	s_clause 0x1
	global_load_dwordx4 v[5:8], v[1:2], off
	global_load_dwordx4 v[1:4], v[3:4], off
	v_mov_b32_e32 v12, v15
	v_mad_u64_u32 v[14:15], null, s1, v18, v[14:15]
	v_mov_b32_e32 v15, v17
	v_mad_u64_u32 v[18:19], null, s0, v23, 0
	v_lshlrev_b64 v[9:10], 4, v[9:10]
	v_lshlrev_b64 v[11:12], 4, v[11:12]
	v_mad_u64_u32 v[20:21], null, s1, v20, v[15:16]
	v_mad_u64_u32 v[21:22], null, s0, v24, 0
	v_mov_b32_e32 v15, v19
	v_add_co_u32 v9, vcc_lo, v25, v9
	v_lshlrev_b64 v[13:14], 4, v[13:14]
	v_mov_b32_e32 v17, v20
	v_mad_u64_u32 v[19:20], null, s1, v23, v[15:16]
	v_mov_b32_e32 v15, v22
	v_add_co_ci_u32_e32 v10, vcc_lo, v26, v10, vcc_lo
	v_add_co_u32 v11, vcc_lo, v25, v11
	v_mad_u64_u32 v[22:23], null, s1, v24, v[15:16]
	v_lshlrev_b64 v[15:16], 4, v[16:17]
	v_add_co_ci_u32_e32 v12, vcc_lo, v26, v12, vcc_lo
	v_add_co_u32 v23, vcc_lo, v25, v13
	v_add_co_ci_u32_e32 v24, vcc_lo, v26, v14, vcc_lo
	v_lshlrev_b64 v[13:14], 4, v[18:19]
	v_add_co_u32 v17, vcc_lo, v25, v15
	v_add_co_ci_u32_e32 v18, vcc_lo, v26, v16, vcc_lo
	v_lshlrev_b64 v[15:16], 4, v[21:22]
	v_add_co_u32 v19, vcc_lo, v25, v13
	v_add_co_ci_u32_e32 v20, vcc_lo, v26, v14, vcc_lo
	v_add_co_u32 v37, vcc_lo, v25, v15
	v_add_co_ci_u32_e32 v38, vcc_lo, v26, v16, vcc_lo
	s_clause 0x5
	global_load_dwordx4 v[13:16], v[9:10], off
	global_load_dwordx4 v[9:12], v[11:12], off
	;; [unrolled: 1-line block ×6, first 2 shown]
.LBB0_13:
	s_or_b32 exec_lo, exec_lo, s6
	s_waitcnt vmcnt(3)
	v_add_f64 v[25:26], v[5:6], -v[25:26]
	v_add_f64 v[27:28], v[7:8], -v[27:28]
	s_waitcnt vmcnt(1)
	v_add_f64 v[29:30], v[13:14], -v[29:30]
	v_add_f64 v[31:32], v[15:16], -v[31:32]
	;; [unrolled: 1-line block ×4, first 2 shown]
	s_waitcnt vmcnt(0)
	v_add_f64 v[17:18], v[9:10], -v[17:18]
	v_add_f64 v[19:20], v[11:12], -v[19:20]
	s_mov_b32 s6, 0x667f3bcd
	s_mov_b32 s7, 0xbfe6a09e
	;; [unrolled: 1-line block ×4, first 2 shown]
	v_fma_f64 v[5:6], v[5:6], 2.0, -v[25:26]
	v_fma_f64 v[7:8], v[7:8], 2.0, -v[27:28]
	;; [unrolled: 1-line block ×8, first 2 shown]
	v_add_f64 v[31:32], v[25:26], -v[31:32]
	v_add_f64 v[29:30], v[29:30], v[27:28]
	v_add_f64 v[19:20], v[21:22], -v[19:20]
	v_add_f64 v[17:18], v[17:18], v[23:24]
	v_add_f64 v[37:38], v[5:6], -v[13:14]
	v_add_f64 v[39:40], v[7:8], -v[15:16]
	;; [unrolled: 1-line block ×4, first 2 shown]
	v_fma_f64 v[41:42], v[25:26], 2.0, -v[31:32]
	v_fma_f64 v[43:44], v[27:28], 2.0, -v[29:30]
	;; [unrolled: 1-line block ×4, first 2 shown]
	v_fma_f64 v[23:24], v[19:20], s[8:9], v[31:32]
	v_fma_f64 v[25:26], v[17:18], s[8:9], v[29:30]
	v_fma_f64 v[27:28], v[5:6], 2.0, -v[37:38]
	v_fma_f64 v[45:46], v[7:8], 2.0, -v[39:40]
	;; [unrolled: 1-line block ×4, first 2 shown]
	v_add_f64 v[2:3], v[37:38], -v[11:12]
	v_add_f64 v[4:5], v[9:10], v[39:40]
	v_fma_f64 v[51:52], v[21:22], s[6:7], v[41:42]
	v_fma_f64 v[53:54], v[14:15], s[6:7], v[43:44]
	;; [unrolled: 1-line block ×4, first 2 shown]
	v_lshl_add_u32 v1, v36, 12, 0
	v_add_f64 v[10:11], v[27:28], -v[47:48]
	v_add_f64 v[12:13], v[45:46], -v[49:50]
	v_fma_f64 v[18:19], v[37:38], 2.0, -v[2:3]
	v_fma_f64 v[14:15], v[14:15], s[6:7], v[51:52]
	v_fma_f64 v[16:17], v[21:22], s[8:9], v[53:54]
	v_fma_f64 v[20:21], v[39:40], 2.0, -v[4:5]
	v_fma_f64 v[22:23], v[31:32], 2.0, -v[6:7]
	;; [unrolled: 1-line block ×3, first 2 shown]
	v_lshl_add_u32 v30, v35, 4, v1
	v_fma_f64 v[26:27], v[27:28], 2.0, -v[10:11]
	v_fma_f64 v[28:29], v[45:46], 2.0, -v[12:13]
	;; [unrolled: 1-line block ×4, first 2 shown]
	ds_write_b128 v30, v[2:5] offset:3072
	ds_write_b128 v30, v[6:9] offset:3584
	;; [unrolled: 1-line block ×6, first 2 shown]
	ds_write_b128 v30, v[26:29]
	ds_write_b128 v30, v[37:40] offset:512
	s_waitcnt lgkmcnt(0)
	s_barrier
	buffer_gl0_inv
	s_and_saveexec_b32 s11, s10
	s_cbranch_execz .LBB0_15
; %bb.14:
	v_bfe_u32 v32, v0, 5, 3
	v_mul_i32_i24_e32 v30, 0xfffff200, v36
	v_lshlrev_b32_e32 v31, 4, v35
	v_lshrrev_b32_e32 v0, 2, v0
	v_add_co_u32 v59, vcc_lo, s12, v33
	v_mul_u32_u24_e32 v2, 7, v32
	v_add3_u32 v56, v1, v30, v31
	v_and_or_b32 v58, 0xc0, v0, v32
	v_add_co_ci_u32_e32 v60, vcc_lo, s13, v34, vcc_lo
	v_lshlrev_b32_e32 v26, 4, v2
	s_clause 0x6
	global_load_dwordx4 v[2:5], v26, s[4:5]
	global_load_dwordx4 v[6:9], v26, s[4:5] offset:64
	global_load_dwordx4 v[10:13], v26, s[4:5] offset:32
	;; [unrolled: 1-line block ×6, first 2 shown]
	ds_read_b128 v[36:39], v56 offset:4096
	ds_read_b128 v[40:43], v56 offset:20480
	;; [unrolled: 1-line block ×4, first 2 shown]
	v_or_b32_e32 v32, 8, v58
	v_or_b32_e32 v33, 16, v58
	;; [unrolled: 1-line block ×3, first 2 shown]
	s_waitcnt vmcnt(6) lgkmcnt(3)
	v_mul_f64 v[30:31], v[38:39], v[4:5]
	v_mul_f64 v[4:5], v[36:37], v[4:5]
	s_waitcnt vmcnt(5) lgkmcnt(2)
	v_mul_f64 v[52:53], v[42:43], v[8:9]
	v_mul_f64 v[8:9], v[40:41], v[8:9]
	s_waitcnt vmcnt(4) lgkmcnt(1)
	v_mul_f64 v[54:55], v[44:45], v[12:13]
	v_mul_f64 v[12:13], v[46:47], v[12:13]
	v_fma_f64 v[30:31], v[36:37], v[2:3], -v[30:31]
	v_fma_f64 v[36:37], v[38:39], v[2:3], v[4:5]
	ds_read_b128 v[1:4], v56 offset:16384
	v_fma_f64 v[38:39], v[40:41], v[6:7], -v[52:53]
	v_fma_f64 v[40:41], v[42:43], v[6:7], v[8:9]
	s_waitcnt vmcnt(3) lgkmcnt(1)
	v_mul_f64 v[42:43], v[48:49], v[16:17]
	v_mul_f64 v[16:17], v[50:51], v[16:17]
	v_fma_f64 v[46:47], v[46:47], v[10:11], v[54:55]
	v_fma_f64 v[44:45], v[44:45], v[10:11], -v[12:13]
	ds_read_b128 v[9:12], v56 offset:24576
	ds_read_b128 v[5:8], v56 offset:8192
	s_waitcnt vmcnt(2) lgkmcnt(2)
	v_mul_f64 v[52:53], v[1:2], v[20:21]
	v_mul_f64 v[20:21], v[3:4], v[20:21]
	v_add_f64 v[38:39], v[30:31], -v[38:39]
	v_add_f64 v[40:41], v[36:37], -v[40:41]
	v_fma_f64 v[42:43], v[50:51], v[14:15], v[42:43]
	v_fma_f64 v[48:49], v[48:49], v[14:15], -v[16:17]
	ds_read_b128 v[13:16], v56
	s_waitcnt vmcnt(1) lgkmcnt(1)
	v_mul_f64 v[54:55], v[7:8], v[24:25]
	v_mul_f64 v[24:25], v[5:6], v[24:25]
	s_waitcnt vmcnt(0)
	v_mul_f64 v[56:57], v[11:12], v[28:29]
	v_mad_u64_u32 v[50:51], null, s2, v35, 0
	v_fma_f64 v[3:4], v[3:4], v[18:19], v[52:53]
	v_fma_f64 v[0:1], v[1:2], v[18:19], -v[20:21]
	v_mul_f64 v[17:18], v[9:10], v[28:29]
	v_mov_b32_e32 v2, v51
	v_mad_u64_u32 v[19:20], null, s0, v58, 0
	v_mad_u64_u32 v[28:29], null, s0, v34, 0
	v_fma_f64 v[5:6], v[5:6], v[22:23], -v[54:55]
	v_fma_f64 v[7:8], v[7:8], v[22:23], v[24:25]
	v_mad_u64_u32 v[24:25], null, s0, v33, 0
	v_fma_f64 v[9:10], v[9:10], v[26:27], -v[56:57]
	v_or_b32_e32 v52, 32, v58
	v_or_b32_e32 v53, 40, v58
	v_add_f64 v[48:49], v[44:45], -v[48:49]
	v_add_f64 v[42:43], v[46:47], -v[42:43]
	v_fma_f64 v[30:31], v[30:31], 2.0, -v[38:39]
	v_fma_f64 v[36:37], v[36:37], 2.0, -v[40:41]
	v_mad_u64_u32 v[21:22], null, s3, v35, v[2:3]
	v_mad_u64_u32 v[22:23], null, s0, v32, 0
	v_fma_f64 v[11:12], v[11:12], v[26:27], v[17:18]
	v_mad_u64_u32 v[17:18], null, s0, v52, 0
	v_mov_b32_e32 v2, v20
	v_mov_b32_e32 v51, v21
	;; [unrolled: 1-line block ×5, first 2 shown]
	s_waitcnt lgkmcnt(0)
	v_add_f64 v[0:1], v[13:14], -v[0:1]
	v_lshlrev_b64 v[50:51], 4, v[50:51]
	v_add_f64 v[9:10], v[5:6], -v[9:10]
	v_mad_u64_u32 v[25:26], null, s1, v32, v[20:21]
	v_mad_u64_u32 v[26:27], null, s1, v33, v[21:22]
	;; [unrolled: 1-line block ×5, first 2 shown]
	v_or_b32_e32 v18, 48, v58
	v_mad_u64_u32 v[20:21], null, s1, v58, v[2:3]
	v_add_f64 v[2:3], v[15:16], -v[3:4]
	v_add_f64 v[11:12], v[7:8], -v[11:12]
	v_add_co_u32 v65, vcc_lo, v59, v50
	v_mov_b32_e32 v4, v35
	v_or_b32_e32 v21, 56, v58
	v_add_co_ci_u32_e32 v66, vcc_lo, v60, v51, vcc_lo
	v_mad_u64_u32 v[50:51], null, s0, v18, 0
	v_mad_u64_u32 v[52:53], null, s1, v53, v[4:5]
	;; [unrolled: 1-line block ×3, first 2 shown]
	v_mov_b32_e32 v23, v25
	v_mov_b32_e32 v25, v26
	;; [unrolled: 1-line block ×3, first 2 shown]
	v_fma_f64 v[13:14], v[13:14], 2.0, -v[0:1]
	v_fma_f64 v[46:47], v[46:47], 2.0, -v[42:43]
	v_add_f64 v[42:43], v[38:39], -v[42:43]
	v_mov_b32_e32 v29, v32
	v_mad_u64_u32 v[26:27], null, s1, v18, v[4:5]
	v_mov_b32_e32 v4, v54
	v_fma_f64 v[15:16], v[15:16], 2.0, -v[2:3]
	v_mov_b32_e32 v18, v33
	v_lshlrev_b64 v[19:20], 4, v[19:20]
	v_mov_b32_e32 v35, v52
	v_mad_u64_u32 v[54:55], null, s1, v21, v[4:5]
	v_fma_f64 v[4:5], v[5:6], 2.0, -v[9:10]
	v_add_f64 v[55:56], v[2:3], v[9:10]
	v_fma_f64 v[6:7], v[7:8], 2.0, -v[11:12]
	v_fma_f64 v[8:9], v[44:45], 2.0, -v[48:49]
	v_add_f64 v[44:45], v[40:41], v[48:49]
	v_add_f64 v[48:49], v[0:1], -v[11:12]
	v_mov_b32_e32 v51, v26
	v_lshlrev_b64 v[21:22], 4, v[22:23]
	v_lshlrev_b64 v[23:24], 4, v[24:25]
	v_lshlrev_b64 v[61:62], 4, v[28:29]
	v_lshlrev_b64 v[63:64], 4, v[17:18]
	v_fma_f64 v[10:11], v[38:39], 2.0, -v[42:43]
	v_lshlrev_b64 v[34:35], 4, v[34:35]
	v_fma_f64 v[59:60], v[2:3], 2.0, -v[55:56]
	v_add_f64 v[57:58], v[15:16], -v[6:7]
	v_add_f64 v[6:7], v[30:31], -v[8:9]
	;; [unrolled: 1-line block ×4, first 2 shown]
	v_fma_f64 v[40:41], v[40:41], 2.0, -v[44:45]
	v_fma_f64 v[38:39], v[0:1], 2.0, -v[48:49]
	v_fma_f64 v[0:1], v[44:45], s[8:9], v[55:56]
	v_fma_f64 v[4:5], v[42:43], s[8:9], v[48:49]
	v_fma_f64 v[32:33], v[15:16], 2.0, -v[57:58]
	v_fma_f64 v[15:16], v[36:37], 2.0, -v[8:9]
	;; [unrolled: 1-line block ×4, first 2 shown]
	v_fma_f64 v[26:27], v[40:41], s[6:7], v[59:60]
	v_fma_f64 v[30:31], v[10:11], s[6:7], v[38:39]
	;; [unrolled: 1-line block ×4, first 2 shown]
	v_add_f64 v[4:5], v[46:47], -v[8:9]
	v_add_f64 v[6:7], v[57:58], v[6:7]
	v_add_co_u32 v44, vcc_lo, v65, v19
	v_add_co_ci_u32_e32 v45, vcc_lo, v66, v20, vcc_lo
	v_lshlrev_b64 v[42:43], 4, v[53:54]
	v_add_f64 v[14:15], v[32:33], -v[15:16]
	v_add_f64 v[12:13], v[36:37], -v[12:13]
	v_fma_f64 v[10:11], v[10:11], s[8:9], v[26:27]
	v_fma_f64 v[8:9], v[40:41], s[6:7], v[30:31]
	v_lshlrev_b64 v[40:41], 4, v[50:51]
	v_add_co_u32 v50, vcc_lo, v65, v21
	v_add_co_ci_u32_e32 v51, vcc_lo, v66, v22, vcc_lo
	v_add_co_u32 v52, vcc_lo, v65, v23
	v_add_co_ci_u32_e32 v53, vcc_lo, v66, v24, vcc_lo
	v_fma_f64 v[22:23], v[57:58], 2.0, -v[6:7]
	v_fma_f64 v[20:21], v[46:47], 2.0, -v[4:5]
	;; [unrolled: 1-line block ×5, first 2 shown]
	v_add_co_u32 v32, vcc_lo, v65, v61
	v_fma_f64 v[28:29], v[36:37], 2.0, -v[12:13]
	v_fma_f64 v[26:27], v[59:60], 2.0, -v[10:11]
	;; [unrolled: 1-line block ×3, first 2 shown]
	v_add_co_ci_u32_e32 v33, vcc_lo, v66, v62, vcc_lo
	v_add_co_u32 v36, vcc_lo, v65, v63
	v_add_co_ci_u32_e32 v37, vcc_lo, v66, v64, vcc_lo
	v_add_co_u32 v34, vcc_lo, v65, v34
	;; [unrolled: 2-line block ×4, first 2 shown]
	v_add_co_ci_u32_e32 v41, vcc_lo, v66, v43, vcc_lo
	global_store_dwordx4 v[44:45], v[28:31], off
	global_store_dwordx4 v[50:51], v[24:27], off
	;; [unrolled: 1-line block ×8, first 2 shown]
.LBB0_15:
	s_endpgm
	.section	.rodata,"a",@progbits
	.p2align	6, 0x0
	.amdhsa_kernel fft_rtc_fwd_len64_factors_8_8_wgs_256_tpt_8_dp_ip_CI_sbcc_dirReg
		.amdhsa_group_segment_fixed_size 0
		.amdhsa_private_segment_fixed_size 0
		.amdhsa_kernarg_size 96
		.amdhsa_user_sgpr_count 6
		.amdhsa_user_sgpr_private_segment_buffer 1
		.amdhsa_user_sgpr_dispatch_ptr 0
		.amdhsa_user_sgpr_queue_ptr 0
		.amdhsa_user_sgpr_kernarg_segment_ptr 1
		.amdhsa_user_sgpr_dispatch_id 0
		.amdhsa_user_sgpr_flat_scratch_init 0
		.amdhsa_user_sgpr_private_segment_size 0
		.amdhsa_wavefront_size32 1
		.amdhsa_uses_dynamic_stack 0
		.amdhsa_system_sgpr_private_segment_wavefront_offset 0
		.amdhsa_system_sgpr_workgroup_id_x 1
		.amdhsa_system_sgpr_workgroup_id_y 0
		.amdhsa_system_sgpr_workgroup_id_z 0
		.amdhsa_system_sgpr_workgroup_info 0
		.amdhsa_system_vgpr_workitem_id 0
		.amdhsa_next_free_vgpr 67
		.amdhsa_next_free_sgpr 42
		.amdhsa_reserve_vcc 1
		.amdhsa_reserve_flat_scratch 0
		.amdhsa_float_round_mode_32 0
		.amdhsa_float_round_mode_16_64 0
		.amdhsa_float_denorm_mode_32 3
		.amdhsa_float_denorm_mode_16_64 3
		.amdhsa_dx10_clamp 1
		.amdhsa_ieee_mode 1
		.amdhsa_fp16_overflow 0
		.amdhsa_workgroup_processor_mode 1
		.amdhsa_memory_ordered 1
		.amdhsa_forward_progress 0
		.amdhsa_shared_vgpr_count 0
		.amdhsa_exception_fp_ieee_invalid_op 0
		.amdhsa_exception_fp_denorm_src 0
		.amdhsa_exception_fp_ieee_div_zero 0
		.amdhsa_exception_fp_ieee_overflow 0
		.amdhsa_exception_fp_ieee_underflow 0
		.amdhsa_exception_fp_ieee_inexact 0
		.amdhsa_exception_int_div_zero 0
	.end_amdhsa_kernel
	.text
.Lfunc_end0:
	.size	fft_rtc_fwd_len64_factors_8_8_wgs_256_tpt_8_dp_ip_CI_sbcc_dirReg, .Lfunc_end0-fft_rtc_fwd_len64_factors_8_8_wgs_256_tpt_8_dp_ip_CI_sbcc_dirReg
                                        ; -- End function
	.section	.AMDGPU.csdata,"",@progbits
; Kernel info:
; codeLenInByte = 3676
; NumSgprs: 44
; NumVgprs: 67
; ScratchSize: 0
; MemoryBound: 1
; FloatMode: 240
; IeeeMode: 1
; LDSByteSize: 0 bytes/workgroup (compile time only)
; SGPRBlocks: 5
; VGPRBlocks: 8
; NumSGPRsForWavesPerEU: 44
; NumVGPRsForWavesPerEU: 67
; Occupancy: 12
; WaveLimiterHint : 1
; COMPUTE_PGM_RSRC2:SCRATCH_EN: 0
; COMPUTE_PGM_RSRC2:USER_SGPR: 6
; COMPUTE_PGM_RSRC2:TRAP_HANDLER: 0
; COMPUTE_PGM_RSRC2:TGID_X_EN: 1
; COMPUTE_PGM_RSRC2:TGID_Y_EN: 0
; COMPUTE_PGM_RSRC2:TGID_Z_EN: 0
; COMPUTE_PGM_RSRC2:TIDIG_COMP_CNT: 0
	.text
	.p2alignl 6, 3214868480
	.fill 48, 4, 3214868480
	.type	__hip_cuid_cec5c0b9a8cf481c,@object ; @__hip_cuid_cec5c0b9a8cf481c
	.section	.bss,"aw",@nobits
	.globl	__hip_cuid_cec5c0b9a8cf481c
__hip_cuid_cec5c0b9a8cf481c:
	.byte	0                               ; 0x0
	.size	__hip_cuid_cec5c0b9a8cf481c, 1

	.ident	"AMD clang version 19.0.0git (https://github.com/RadeonOpenCompute/llvm-project roc-6.4.0 25133 c7fe45cf4b819c5991fe208aaa96edf142730f1d)"
	.section	".note.GNU-stack","",@progbits
	.addrsig
	.addrsig_sym __hip_cuid_cec5c0b9a8cf481c
	.amdgpu_metadata
---
amdhsa.kernels:
  - .args:
      - .actual_access:  read_only
        .address_space:  global
        .offset:         0
        .size:           8
        .value_kind:     global_buffer
      - .address_space:  global
        .offset:         8
        .size:           8
        .value_kind:     global_buffer
      - .offset:         16
        .size:           8
        .value_kind:     by_value
      - .actual_access:  read_only
        .address_space:  global
        .offset:         24
        .size:           8
        .value_kind:     global_buffer
      - .actual_access:  read_only
        .address_space:  global
        .offset:         32
        .size:           8
        .value_kind:     global_buffer
      - .offset:         40
        .size:           8
        .value_kind:     by_value
      - .actual_access:  read_only
        .address_space:  global
        .offset:         48
        .size:           8
        .value_kind:     global_buffer
      - .actual_access:  read_only
        .address_space:  global
        .offset:         56
        .size:           8
        .value_kind:     global_buffer
      - .offset:         64
        .size:           4
        .value_kind:     by_value
      - .actual_access:  read_only
        .address_space:  global
        .offset:         72
        .size:           8
        .value_kind:     global_buffer
      - .actual_access:  read_only
        .address_space:  global
        .offset:         80
        .size:           8
        .value_kind:     global_buffer
      - .address_space:  global
        .offset:         88
        .size:           8
        .value_kind:     global_buffer
    .group_segment_fixed_size: 0
    .kernarg_segment_align: 8
    .kernarg_segment_size: 96
    .language:       OpenCL C
    .language_version:
      - 2
      - 0
    .max_flat_workgroup_size: 256
    .name:           fft_rtc_fwd_len64_factors_8_8_wgs_256_tpt_8_dp_ip_CI_sbcc_dirReg
    .private_segment_fixed_size: 0
    .sgpr_count:     44
    .sgpr_spill_count: 0
    .symbol:         fft_rtc_fwd_len64_factors_8_8_wgs_256_tpt_8_dp_ip_CI_sbcc_dirReg.kd
    .uniform_work_group_size: 1
    .uses_dynamic_stack: false
    .vgpr_count:     67
    .vgpr_spill_count: 0
    .wavefront_size: 32
    .workgroup_processor_mode: 1
amdhsa.target:   amdgcn-amd-amdhsa--gfx1030
amdhsa.version:
  - 1
  - 2
...

	.end_amdgpu_metadata
